;; amdgpu-corpus repo=ROCm/rocFFT kind=compiled arch=gfx1030 opt=O3
	.text
	.amdgcn_target "amdgcn-amd-amdhsa--gfx1030"
	.amdhsa_code_object_version 6
	.protected	fft_rtc_back_len60_factors_6_10_wgs_160_tpt_10_dp_ip_CI_sbcc_twdbase5_3step ; -- Begin function fft_rtc_back_len60_factors_6_10_wgs_160_tpt_10_dp_ip_CI_sbcc_twdbase5_3step
	.globl	fft_rtc_back_len60_factors_6_10_wgs_160_tpt_10_dp_ip_CI_sbcc_twdbase5_3step
	.p2align	8
	.type	fft_rtc_back_len60_factors_6_10_wgs_160_tpt_10_dp_ip_CI_sbcc_twdbase5_3step,@function
fft_rtc_back_len60_factors_6_10_wgs_160_tpt_10_dp_ip_CI_sbcc_twdbase5_3step: ; @fft_rtc_back_len60_factors_6_10_wgs_160_tpt_10_dp_ip_CI_sbcc_twdbase5_3step
; %bb.0:
	s_load_dwordx8 s[8:15], s[4:5], 0x8
	s_mov_b32 s0, exec_lo
	v_cmpx_gt_u32_e32 0x60, v0
	s_cbranch_execz .LBB0_2
; %bb.1:
	v_lshlrev_b32_e32 v5, 4, v0
	s_waitcnt lgkmcnt(0)
	global_load_dwordx4 v[1:4], v5, s[8:9]
	v_add3_u32 v5, 0, v5, 0x3c00
	s_waitcnt vmcnt(0)
	ds_write2_b64 v5, v[1:2], v[3:4] offset1:1
.LBB0_2:
	s_or_b32 exec_lo, exec_lo, s0
	s_waitcnt lgkmcnt(0)
	s_load_dwordx2 s[18:19], s[12:13], 0x8
	s_mov_b32 s7, 0
	s_mov_b64 s[22:23], 0
	s_waitcnt lgkmcnt(0)
	s_add_u32 s0, s18, -1
	s_addc_u32 s1, s19, -1
	s_lshr_b64 s[0:1], s[0:1], 4
	s_add_u32 s20, s0, 1
	s_addc_u32 s21, s1, 0
	v_cmp_lt_u64_e64 s0, s[6:7], s[20:21]
	s_and_b32 vcc_lo, exec_lo, s0
	s_cbranch_vccnz .LBB0_4
; %bb.3:
	v_cvt_f32_u32_e32 v1, s20
	s_sub_i32 s1, 0, s20
	s_mov_b32 s23, s7
	v_rcp_iflag_f32_e32 v1, v1
	v_mul_f32_e32 v1, 0x4f7ffffe, v1
	v_cvt_u32_f32_e32 v1, v1
	v_readfirstlane_b32 s0, v1
	s_mul_i32 s1, s1, s0
	s_mul_hi_u32 s1, s0, s1
	s_add_i32 s0, s0, s1
	s_mul_hi_u32 s0, s6, s0
	s_mul_i32 s1, s0, s20
	s_add_i32 s2, s0, 1
	s_sub_i32 s1, s6, s1
	s_sub_i32 s3, s1, s20
	s_cmp_ge_u32 s1, s20
	s_cselect_b32 s0, s2, s0
	s_cselect_b32 s1, s3, s1
	s_add_i32 s2, s0, 1
	s_cmp_ge_u32 s1, s20
	s_cselect_b32 s22, s2, s0
.LBB0_4:
	s_load_dwordx4 s[0:3], s[14:15], 0x0
	s_mul_i32 s8, s22, s21
	s_mul_hi_u32 s9, s22, s20
	s_mul_i32 s16, s22, s20
	s_add_i32 s9, s9, s8
	s_sub_u32 s16, s6, s16
	s_subb_u32 s17, 0, s9
	s_clause 0x1
	s_load_dwordx2 s[8:9], s[4:5], 0x58
	s_load_dwordx2 s[4:5], s[4:5], 0x0
	v_alignbit_b32 v1, s17, s16, 28
	s_lshl_b64 s[16:17], s[16:17], 4
	v_cmp_lt_u64_e64 s25, s[10:11], 3
	s_and_b32 vcc_lo, exec_lo, s25
	s_waitcnt lgkmcnt(0)
	v_mul_lo_u32 v1, s2, v1
	s_mul_hi_u32 s24, s2, s16
	s_mul_i32 s26, s3, s16
	v_add_nc_u32_e32 v2, s24, v1
	s_mul_i32 s24, s2, s16
	v_mov_b32_e32 v1, s24
	v_add_nc_u32_e32 v2, s26, v2
	s_cbranch_vccnz .LBB0_13
; %bb.5:
	s_add_u32 s24, s14, 16
	s_addc_u32 s25, s15, 0
	s_add_u32 s12, s12, 16
	s_addc_u32 s13, s13, 0
	s_mov_b64 s[26:27], 2
	s_mov_b32 s28, 0
	s_branch .LBB0_7
.LBB0_6:                                ;   in Loop: Header=BB0_7 Depth=1
	s_load_dwordx2 s[36:37], s[24:25], 0x0
	s_mul_i32 s21, s30, s21
	s_mul_hi_u32 s29, s30, s20
	s_mul_i32 s33, s31, s20
	s_mul_i32 s31, s34, s31
	s_mul_hi_u32 s38, s34, s30
	s_mul_i32 s39, s35, s30
	s_add_i32 s21, s29, s21
	s_add_i32 s29, s38, s31
	s_mul_i32 s40, s34, s30
	s_add_i32 s21, s21, s33
	s_add_i32 s29, s29, s39
	s_sub_u32 s22, s22, s40
	s_subb_u32 s23, s23, s29
	s_mul_i32 s20, s30, s20
	s_waitcnt lgkmcnt(0)
	s_mul_i32 s23, s36, s23
	s_mul_hi_u32 s29, s36, s22
	s_mul_i32 s31, s37, s22
	s_add_i32 s23, s29, s23
	s_mul_i32 s22, s36, s22
	s_add_i32 s23, s23, s31
	s_add_u32 s26, s26, 1
	s_addc_u32 s27, s27, 0
	v_add_co_u32 v1, vcc_lo, s22, v1
	v_cmp_ge_u64_e64 s29, s[26:27], s[10:11]
	v_add_co_ci_u32_e32 v2, vcc_lo, s23, v2, vcc_lo
	s_add_u32 s24, s24, 8
	s_addc_u32 s25, s25, 0
	s_add_u32 s12, s12, 8
	s_addc_u32 s13, s13, 0
	s_and_b32 vcc_lo, exec_lo, s29
	s_mov_b64 s[22:23], s[34:35]
	s_cbranch_vccnz .LBB0_11
.LBB0_7:                                ; =>This Inner Loop Header: Depth=1
	s_load_dwordx2 s[30:31], s[12:13], 0x0
	s_waitcnt lgkmcnt(0)
	s_or_b64 s[34:35], s[22:23], s[30:31]
	s_mov_b32 s29, s35
                                        ; implicit-def: $sgpr34_sgpr35
	s_cmp_lg_u64 s[28:29], 0
	s_mov_b32 s29, -1
	s_cbranch_scc0 .LBB0_9
; %bb.8:                                ;   in Loop: Header=BB0_7 Depth=1
	v_cvt_f32_u32_e32 v3, s30
	v_cvt_f32_u32_e32 v4, s31
	s_sub_u32 s34, 0, s30
	s_subb_u32 s35, 0, s31
	v_fmac_f32_e32 v3, 0x4f800000, v4
	v_rcp_f32_e32 v3, v3
	v_mul_f32_e32 v3, 0x5f7ffffc, v3
	v_mul_f32_e32 v4, 0x2f800000, v3
	v_trunc_f32_e32 v4, v4
	v_fmac_f32_e32 v3, 0xcf800000, v4
	v_cvt_u32_f32_e32 v4, v4
	v_cvt_u32_f32_e32 v3, v3
	v_readfirstlane_b32 s29, v4
	v_readfirstlane_b32 s33, v3
	s_mul_i32 s36, s34, s29
	s_mul_hi_u32 s38, s34, s33
	s_mul_i32 s37, s35, s33
	s_add_i32 s36, s38, s36
	s_mul_i32 s39, s34, s33
	s_add_i32 s36, s36, s37
	s_mul_hi_u32 s38, s33, s39
	s_mul_hi_u32 s40, s29, s39
	s_mul_i32 s37, s29, s39
	s_mul_hi_u32 s39, s33, s36
	s_mul_i32 s33, s33, s36
	s_mul_hi_u32 s41, s29, s36
	s_add_u32 s33, s38, s33
	s_addc_u32 s38, 0, s39
	s_add_u32 s33, s33, s37
	s_mul_i32 s36, s29, s36
	s_addc_u32 s33, s38, s40
	s_addc_u32 s37, s41, 0
	s_add_u32 s33, s33, s36
	s_addc_u32 s36, 0, s37
	v_add_co_u32 v3, s33, v3, s33
	s_cmp_lg_u32 s33, 0
	s_addc_u32 s29, s29, s36
	v_readfirstlane_b32 s33, v3
	s_mul_i32 s36, s34, s29
	s_mul_hi_u32 s37, s34, s33
	s_mul_i32 s35, s35, s33
	s_add_i32 s36, s37, s36
	s_mul_i32 s34, s34, s33
	s_add_i32 s36, s36, s35
	s_mul_hi_u32 s37, s29, s34
	s_mul_i32 s38, s29, s34
	s_mul_hi_u32 s34, s33, s34
	s_mul_hi_u32 s39, s33, s36
	s_mul_i32 s33, s33, s36
	s_mul_hi_u32 s35, s29, s36
	s_add_u32 s33, s34, s33
	s_addc_u32 s34, 0, s39
	s_add_u32 s33, s33, s38
	s_mul_i32 s36, s29, s36
	s_addc_u32 s33, s34, s37
	s_addc_u32 s34, s35, 0
	s_add_u32 s33, s33, s36
	s_addc_u32 s34, 0, s34
	v_add_co_u32 v3, s33, v3, s33
	s_cmp_lg_u32 s33, 0
	s_addc_u32 s29, s29, s34
	v_readfirstlane_b32 s33, v3
	s_mul_i32 s35, s22, s29
	s_mul_hi_u32 s34, s22, s29
	s_mul_hi_u32 s36, s23, s29
	s_mul_i32 s29, s23, s29
	s_mul_hi_u32 s37, s22, s33
	s_mul_hi_u32 s38, s23, s33
	s_mul_i32 s33, s23, s33
	s_add_u32 s35, s37, s35
	s_addc_u32 s34, 0, s34
	s_add_u32 s33, s35, s33
	s_addc_u32 s33, s34, s38
	s_addc_u32 s34, s36, 0
	s_add_u32 s33, s33, s29
	s_addc_u32 s34, 0, s34
	s_mul_hi_u32 s29, s30, s33
	s_mul_i32 s36, s30, s34
	s_mul_i32 s37, s30, s33
	s_add_i32 s29, s29, s36
	v_sub_co_u32 v3, s36, s22, s37
	s_mul_i32 s35, s31, s33
	s_add_i32 s29, s29, s35
	v_sub_co_u32 v4, s37, v3, s30
	s_sub_i32 s35, s23, s29
	s_cmp_lg_u32 s36, 0
	s_subb_u32 s35, s35, s31
	s_cmp_lg_u32 s37, 0
	v_readfirstlane_b32 s37, v4
	s_subb_u32 s35, s35, 0
	s_cmp_ge_u32 s35, s31
	s_cselect_b32 s38, -1, 0
	s_cmp_ge_u32 s37, s30
	s_cselect_b32 s37, -1, 0
	s_cmp_eq_u32 s35, s31
	s_cselect_b32 s35, s37, s38
	s_add_u32 s37, s33, 1
	s_addc_u32 s38, s34, 0
	s_add_u32 s39, s33, 2
	s_addc_u32 s40, s34, 0
	s_cmp_lg_u32 s35, 0
	s_cselect_b32 s37, s39, s37
	s_cselect_b32 s35, s40, s38
	s_cmp_lg_u32 s36, 0
	v_readfirstlane_b32 s36, v3
	s_subb_u32 s29, s23, s29
	s_cmp_ge_u32 s29, s31
	s_cselect_b32 s38, -1, 0
	s_cmp_ge_u32 s36, s30
	s_cselect_b32 s36, -1, 0
	s_cmp_eq_u32 s29, s31
	s_cselect_b32 s29, s36, s38
	s_cmp_lg_u32 s29, 0
	s_mov_b32 s29, 0
	s_cselect_b32 s35, s35, s34
	s_cselect_b32 s34, s37, s33
.LBB0_9:                                ;   in Loop: Header=BB0_7 Depth=1
	s_andn2_b32 vcc_lo, exec_lo, s29
	s_cbranch_vccnz .LBB0_6
; %bb.10:                               ;   in Loop: Header=BB0_7 Depth=1
	v_cvt_f32_u32_e32 v3, s30
	s_sub_i32 s33, 0, s30
	v_rcp_iflag_f32_e32 v3, v3
	v_mul_f32_e32 v3, 0x4f7ffffe, v3
	v_cvt_u32_f32_e32 v3, v3
	v_readfirstlane_b32 s29, v3
	s_mul_i32 s33, s33, s29
	s_mul_hi_u32 s33, s29, s33
	s_add_i32 s29, s29, s33
	s_mul_hi_u32 s29, s22, s29
	s_mul_i32 s33, s29, s30
	s_add_i32 s34, s29, 1
	s_sub_i32 s33, s22, s33
	s_sub_i32 s35, s33, s30
	s_cmp_ge_u32 s33, s30
	s_cselect_b32 s29, s34, s29
	s_cselect_b32 s33, s35, s33
	s_add_i32 s34, s29, 1
	s_cmp_ge_u32 s33, s30
	s_mov_b32 s35, s28
	s_cselect_b32 s34, s34, s29
	s_branch .LBB0_6
.LBB0_11:
	v_cmp_lt_u64_e64 s7, s[6:7], s[20:21]
	s_mov_b64 s[22:23], 0
	s_and_b32 vcc_lo, exec_lo, s7
	s_cbranch_vccnz .LBB0_13
; %bb.12:
	v_cvt_f32_u32_e32 v3, s20
	s_sub_i32 s12, 0, s20
	v_rcp_iflag_f32_e32 v3, v3
	v_mul_f32_e32 v3, 0x4f7ffffe, v3
	v_cvt_u32_f32_e32 v3, v3
	v_readfirstlane_b32 s7, v3
	s_mul_i32 s12, s12, s7
	s_mul_hi_u32 s12, s7, s12
	s_add_i32 s7, s7, s12
	s_mul_hi_u32 s7, s6, s7
	s_mul_i32 s12, s7, s20
	s_sub_i32 s6, s6, s12
	s_add_i32 s12, s7, 1
	s_sub_i32 s13, s6, s20
	s_cmp_ge_u32 s6, s20
	s_cselect_b32 s7, s12, s7
	s_cselect_b32 s6, s13, s6
	s_add_i32 s12, s7, 1
	s_cmp_ge_u32 s6, s20
	s_cselect_b32 s22, s12, s7
.LBB0_13:
	s_lshl_b64 s[6:7], s[10:11], 3
	v_and_b32_e32 v168, 15, v0
	s_add_u32 s6, s14, s6
	s_addc_u32 s7, s15, s7
	v_mov_b32_e32 v4, s17
	s_load_dwordx2 s[6:7], s[6:7], 0x0
	v_or_b32_e32 v3, s16, v168
	v_lshrrev_b32_e32 v166, 4, v0
	v_mul_u32_u24_e32 v169, 0x3c0, v168
	v_lshlrev_b32_e32 v170, 4, v166
	v_add_nc_u32_e32 v167, 10, v166
	v_add_nc_u32_e32 v165, 20, v166
	;; [unrolled: 1-line block ×5, first 2 shown]
	s_waitcnt lgkmcnt(0)
	s_mul_i32 s7, s7, s22
	s_mul_hi_u32 s10, s6, s22
	s_mul_i32 s6, s6, s22
	s_add_i32 s10, s10, s7
	v_add_co_u32 v1, vcc_lo, s6, v1
	v_add_co_ci_u32_e32 v2, vcc_lo, s10, v2, vcc_lo
	s_add_u32 s6, s16, 16
	s_addc_u32 s7, s17, 0
	v_cmp_gt_u64_e32 vcc_lo, s[18:19], v[3:4]
	v_cmp_le_u64_e64 s6, s[6:7], s[18:19]
	v_lshlrev_b64 v[160:161], 4, v[1:2]
	s_or_b32 s20, s6, vcc_lo
	s_and_saveexec_b32 s6, s20
	s_cbranch_execz .LBB0_15
; %bb.14:
	v_mad_u64_u32 v[1:2], null, s2, v168, 0
	v_mad_u64_u32 v[3:4], null, s0, v166, 0
	;; [unrolled: 1-line block ×3, first 2 shown]
	v_add_co_u32 v14, vcc_lo, s8, v160
	v_add_co_ci_u32_e32 v15, vcc_lo, s9, v161, vcc_lo
	v_mad_u64_u32 v[7:8], null, s3, v168, v[2:3]
	v_mov_b32_e32 v2, v6
	v_mad_u64_u32 v[8:9], null, s0, v165, 0
	v_mad_u64_u32 v[10:11], null, s1, v166, v[4:5]
	;; [unrolled: 1-line block ×3, first 2 shown]
	v_mov_b32_e32 v2, v7
	v_mad_u64_u32 v[12:13], null, s0, v162, 0
	v_mov_b32_e32 v7, v9
	v_mov_b32_e32 v4, v10
	v_lshlrev_b64 v[1:2], 4, v[1:2]
	v_mov_b32_e32 v6, v11
	v_add3_u32 v25, 0, v169, v170
	v_mad_u64_u32 v[9:10], null, s1, v165, v[7:8]
	v_lshlrev_b64 v[3:4], 4, v[3:4]
	v_add_co_u32 v22, vcc_lo, v14, v1
	v_mov_b32_e32 v1, v13
	v_mad_u64_u32 v[10:11], null, s0, v164, 0
	v_add_co_ci_u32_e32 v23, vcc_lo, v15, v2, vcc_lo
	v_mad_u64_u32 v[1:2], null, s1, v162, v[1:2]
	v_mad_u64_u32 v[14:15], null, s0, v163, 0
	v_add_co_u32 v2, vcc_lo, v22, v3
	v_lshlrev_b64 v[5:6], 4, v[5:6]
	v_add_co_ci_u32_e32 v3, vcc_lo, v23, v4, vcc_lo
	v_mov_b32_e32 v4, v11
	v_mov_b32_e32 v13, v1
	;; [unrolled: 1-line block ×3, first 2 shown]
	v_lshlrev_b64 v[7:8], 4, v[8:9]
	v_mad_u64_u32 v[16:17], null, s1, v164, v[4:5]
	v_mad_u64_u32 v[17:18], null, s1, v163, v[1:2]
	v_add_co_u32 v5, vcc_lo, v22, v5
	v_add_co_ci_u32_e32 v6, vcc_lo, v23, v6, vcc_lo
	v_mov_b32_e32 v11, v16
	v_lshlrev_b64 v[12:13], 4, v[12:13]
	v_add_co_u32 v18, vcc_lo, v22, v7
	v_mov_b32_e32 v15, v17
	v_add_co_ci_u32_e32 v19, vcc_lo, v23, v8, vcc_lo
	v_lshlrev_b64 v[7:8], 4, v[10:11]
	v_add_co_u32 v16, vcc_lo, v22, v12
	v_lshlrev_b64 v[9:10], 4, v[14:15]
	v_add_co_ci_u32_e32 v17, vcc_lo, v23, v13, vcc_lo
	v_add_co_u32 v20, vcc_lo, v22, v7
	v_add_co_ci_u32_e32 v21, vcc_lo, v23, v8, vcc_lo
	v_add_co_u32 v22, vcc_lo, v22, v9
	v_add_co_ci_u32_e32 v23, vcc_lo, v23, v10, vcc_lo
	s_clause 0x5
	global_load_dwordx4 v[1:4], v[2:3], off
	global_load_dwordx4 v[5:8], v[5:6], off
	;; [unrolled: 1-line block ×6, first 2 shown]
	s_waitcnt vmcnt(5)
	ds_write_b128 v25, v[1:4]
	s_waitcnt vmcnt(4)
	ds_write_b128 v25, v[5:8] offset:160
	s_waitcnt vmcnt(3)
	ds_write_b128 v25, v[9:12] offset:320
	;; [unrolled: 2-line block ×5, first 2 shown]
.LBB0_15:
	s_or_b32 exec_lo, exec_lo, s6
	v_mul_hi_u32 v24, 0x1999999a, v0
	s_waitcnt lgkmcnt(0)
	s_barrier
	buffer_gl0_inv
	s_mov_b32 s6, 0xe8584caa
	s_mov_b32 s7, 0xbfebb67a
	;; [unrolled: 1-line block ×4, first 2 shown]
	v_and_b32_e32 v1, 15, v24
	v_mul_u32_u24_e32 v2, 10, v24
                                        ; implicit-def: $vgpr46_vgpr47
                                        ; implicit-def: $vgpr42_vgpr43
	v_mul_u32_u24_e32 v1, 60, v1
	v_sub_nc_u32_e32 v25, v0, v2
	v_lshlrev_b32_e32 v22, 4, v1
	v_lshlrev_b32_e32 v23, 4, v25
	v_cmp_gt_u32_e32 vcc_lo, 6, v25
	v_add3_u32 v171, 0, v23, v22
	v_add3_u32 v172, 0, v22, v23
	ds_read_b128 v[0:3], v171 offset:480
	ds_read_b128 v[4:7], v171 offset:800
	;; [unrolled: 1-line block ×5, first 2 shown]
	s_waitcnt lgkmcnt(3)
	v_add_f64 v[20:21], v[2:3], v[6:7]
	v_add_f64 v[26:27], v[0:1], v[4:5]
	v_add_f64 v[28:29], v[0:1], -v[4:5]
	s_waitcnt lgkmcnt(0)
	v_add_f64 v[32:33], v[12:13], v[16:17]
	v_add_f64 v[34:35], v[14:15], v[18:19]
	v_add_f64 v[36:37], v[2:3], -v[6:7]
	v_add_f64 v[40:41], v[14:15], -v[18:19]
	v_add_f64 v[0:1], v[8:9], v[0:1]
	v_add_f64 v[2:3], v[10:11], v[2:3]
	v_fma_f64 v[30:31], v[20:21], -0.5, v[10:11]
	v_fma_f64 v[26:27], v[26:27], -0.5, v[8:9]
	ds_read_b128 v[20:23], v172
	s_waitcnt lgkmcnt(0)
	s_barrier
	buffer_gl0_inv
	v_add_f64 v[4:5], v[0:1], v[4:5]
	v_add_f64 v[6:7], v[2:3], v[6:7]
	;; [unrolled: 1-line block ×3, first 2 shown]
	v_fma_f64 v[38:39], v[28:29], s[10:11], v[30:31]
	v_fma_f64 v[28:29], v[28:29], s[6:7], v[30:31]
	v_add_f64 v[30:31], v[20:21], v[12:13]
	v_add_f64 v[12:13], v[12:13], -v[16:17]
	v_fma_f64 v[8:9], v[32:33], -0.5, v[20:21]
	v_fma_f64 v[10:11], v[34:35], -0.5, v[22:23]
	v_fma_f64 v[20:21], v[36:37], s[6:7], v[26:27]
	v_fma_f64 v[22:23], v[36:37], s[10:11], v[26:27]
	v_add_f64 v[14:15], v[14:15], v[18:19]
	v_mul_f64 v[26:27], v[38:39], s[6:7]
	v_mul_f64 v[32:33], v[28:29], s[6:7]
	v_mul_f64 v[34:35], v[38:39], 0.5
	v_mul_f64 v[28:29], v[28:29], -0.5
	v_add_f64 v[16:17], v[30:31], v[16:17]
	v_fma_f64 v[30:31], v[40:41], s[6:7], v[8:9]
	v_fma_f64 v[36:37], v[40:41], s[10:11], v[8:9]
	;; [unrolled: 1-line block ×4, first 2 shown]
	v_add_f64 v[2:3], v[14:15], v[6:7]
	v_fma_f64 v[8:9], v[20:21], 0.5, v[26:27]
	v_fma_f64 v[10:11], v[22:23], -0.5, v[32:33]
	v_fma_f64 v[26:27], v[20:21], s[10:11], v[34:35]
	v_fma_f64 v[22:23], v[22:23], s[10:11], v[28:29]
	v_add_f64 v[0:1], v[16:17], v[4:5]
	v_add_f64 v[12:13], v[16:17], -v[4:5]
	v_add_f64 v[14:15], v[14:15], -v[6:7]
                                        ; implicit-def: $vgpr34_vgpr35
	v_add_f64 v[4:5], v[30:31], v[8:9]
	v_add_f64 v[16:17], v[36:37], v[10:11]
	;; [unrolled: 1-line block ×4, first 2 shown]
	v_add_f64 v[8:9], v[30:31], -v[8:9]
	v_add_f64 v[20:21], v[36:37], -v[10:11]
	v_add_f64 v[10:11], v[38:39], -v[26:27]
	v_add_f64 v[22:23], v[40:41], -v[22:23]
	v_mad_i32_i24 v26, 0x50, v25, v171
                                        ; implicit-def: $vgpr38_vgpr39
	ds_write_b128 v26, v[0:3]
	ds_write_b128 v26, v[12:15] offset:48
	ds_write_b128 v26, v[4:7] offset:16
	ds_write_b128 v26, v[16:19] offset:32
	ds_write_b128 v26, v[8:11] offset:64
	ds_write_b128 v26, v[20:23] offset:80
	s_waitcnt lgkmcnt(0)
	s_barrier
	buffer_gl0_inv
	s_and_saveexec_b32 s6, vcc_lo
	s_cbranch_execz .LBB0_17
; %bb.16:
	ds_read_b128 v[0:3], v172
	ds_read_b128 v[4:7], v171 offset:96
	ds_read_b128 v[16:19], v171 offset:192
	;; [unrolled: 1-line block ×9, first 2 shown]
.LBB0_17:
	s_or_b32 exec_lo, exec_lo, s6
	v_add_nc_u32_e32 v26, -6, v25
	v_add_nc_u32_e32 v48, s16, v24
	s_add_i32 s6, 0, 0x3c00
	v_cndmask_b32_e32 v173, v26, v25, vcc_lo
	v_mul_lo_u32 v49, v48, 6
	v_mul_lo_u32 v24, v48, v173
	v_or_b32_e32 v25, 24, v173
	v_mul_lo_u32 v50, v48, v25
	v_and_b32_e32 v26, 31, v24
	v_lshrrev_b32_e32 v27, 1, v24
	v_lshrrev_b32_e32 v28, 6, v24
	v_add_nc_u32_e32 v24, v24, v49
	v_lshl_add_u32 v25, v26, 4, 0
	v_and_b32_e32 v26, 0x1f0, v27
	v_and_b32_e32 v27, 0x1f0, v28
	;; [unrolled: 1-line block ×3, first 2 shown]
	v_lshrrev_b32_e32 v29, 1, v24
	v_lshrrev_b32_e32 v30, 6, v24
	v_add_nc_u32_e32 v24, v24, v49
	v_add_nc_u32_e32 v26, s6, v26
	;; [unrolled: 1-line block ×3, first 2 shown]
	v_and_b32_e32 v29, 0x1f0, v29
	v_lshl_add_u32 v28, v28, 4, 0
	v_lshrrev_b32_e32 v51, 1, v24
	v_and_b32_e32 v30, 0x1f0, v30
	v_and_b32_e32 v31, 31, v24
	v_lshrrev_b32_e32 v52, 6, v24
	v_add_nc_u32_e32 v53, v24, v49
	ds_read_b128 v[60:63], v25 offset:15360
	ds_read_b128 v[64:67], v26 offset:512
	;; [unrolled: 1-line block ×4, first 2 shown]
	v_add_nc_u32_e32 v28, s6, v29
	v_and_b32_e32 v29, 0x1f0, v51
	v_add_nc_u32_e32 v30, s6, v30
	v_lshl_add_u32 v51, v31, 4, 0
	v_and_b32_e32 v54, 31, v53
	v_lshrrev_b32_e32 v56, 1, v53
	v_add_nc_u32_e32 v55, s6, v29
	ds_read_b128 v[72:75], v28 offset:512
	ds_read_b128 v[28:31], v30 offset:1024
	;; [unrolled: 1-line block ×4, first 2 shown]
	v_mul_lo_u32 v55, v48, 12
	v_lshrrev_b32_e32 v51, 6, v53
	v_lshrrev_b32_e32 v57, 1, v50
	v_and_b32_e32 v58, 31, v50
	v_lshrrev_b32_e32 v50, 6, v50
	v_and_b32_e32 v52, 0x1f0, v52
	v_and_b32_e32 v51, 0x1f0, v51
	v_and_b32_e32 v56, 0x1f0, v56
	v_add_nc_u32_e32 v53, v53, v55
	v_and_b32_e32 v50, 0x1f0, v50
	v_and_b32_e32 v57, 0x1f0, v57
	v_add_nc_u32_e32 v59, s6, v51
	v_add_nc_u32_e32 v52, s6, v52
	v_lshrrev_b32_e32 v51, 1, v53
	v_lshrrev_b32_e32 v76, 6, v53
	v_and_b32_e32 v77, 31, v53
	v_add_nc_u32_e32 v53, v53, v49
	v_add_nc_u32_e32 v78, s6, v50
	v_and_b32_e32 v51, 0x1f0, v51
	v_and_b32_e32 v76, 0x1f0, v76
	v_lshl_add_u32 v54, v54, 4, 0
	v_and_b32_e32 v50, 31, v53
	v_add_nc_u32_e32 v49, v53, v49
	v_add_nc_u32_e32 v79, s6, v51
	v_lshrrev_b32_e32 v51, 1, v53
	v_lshrrev_b32_e32 v53, 6, v53
	v_lshl_add_u32 v80, v50, 4, 0
	v_or_b32_e32 v50, 48, v173
	v_lshrrev_b32_e32 v82, 6, v49
	v_and_b32_e32 v51, 0x1f0, v51
	v_lshrrev_b32_e32 v81, 1, v49
	v_and_b32_e32 v53, 0x1f0, v53
	v_mul_lo_u32 v48, v48, v50
	v_and_b32_e32 v50, 31, v49
	v_add_nc_u32_e32 v83, s6, v51
	v_and_b32_e32 v51, 0x1f0, v82
	v_add_nc_u32_e32 v49, v49, v55
	v_add_nc_u32_e32 v92, s6, v53
	v_lshl_add_u32 v93, v50, 4, 0
	v_and_b32_e32 v81, 0x1f0, v81
	v_and_b32_e32 v50, 31, v48
	v_add_nc_u32_e32 v95, s6, v51
	v_lshrrev_b32_e32 v51, 1, v48
	v_lshrrev_b32_e32 v48, 6, v48
	;; [unrolled: 1-line block ×3, first 2 shown]
	v_lshl_add_u32 v96, v50, 4, 0
	v_lshrrev_b32_e32 v50, 1, v49
	v_and_b32_e32 v51, 0x1f0, v51
	v_and_b32_e32 v48, 0x1f0, v48
	;; [unrolled: 1-line block ×5, first 2 shown]
	v_add_nc_u32_e32 v56, s6, v56
	v_lshl_add_u32 v58, v58, 4, 0
	v_add_nc_u32_e32 v57, s6, v57
	v_lshl_add_u32 v77, v77, 4, 0
	v_add_nc_u32_e32 v76, s6, v76
	v_add_nc_u32_e32 v94, s6, v81
	;; [unrolled: 1-line block ×4, first 2 shown]
	v_lshl_add_u32 v100, v49, 4, 0
	v_add_nc_u32_e32 v101, s6, v50
	v_add_nc_u32_e32 v102, s6, v53
	ds_read_b128 v[48:51], v52 offset:1024
	ds_read_b128 v[104:107], v54 offset:15360
	;; [unrolled: 1-line block ×22, first 2 shown]
	s_waitcnt lgkmcnt(0)
	s_barrier
	buffer_gl0_inv
	s_and_saveexec_b32 s21, vcc_lo
	s_cbranch_execz .LBB0_19
; %bb.18:
	v_mul_i32_i24_e32 v173, 9, v173
	v_mov_b32_e32 v174, 0
	v_mul_f64 v[185:186], v[154:155], v[158:159]
	v_mul_f64 v[187:188], v[146:147], v[150:151]
	;; [unrolled: 1-line block ×4, first 2 shown]
	v_lshlrev_b64 v[173:174], 4, v[173:174]
	v_mul_f64 v[193:194], v[138:139], v[142:143]
	v_mul_f64 v[195:196], v[136:137], v[142:143]
	s_mov_b32 s14, 0x134454ff
	s_mov_b32 s15, 0xbfee6f0e
	;; [unrolled: 1-line block ×3, first 2 shown]
	v_add_co_u32 v191, vcc_lo, s4, v173
	v_add_co_ci_u32_e32 v192, vcc_lo, s5, v174, vcc_lo
	s_mov_b32 s12, s14
	s_mov_b32 s16, 0x4755a5e
	s_clause 0x2
	global_load_dwordx4 v[173:176], v[191:192], off offset:16
	global_load_dwordx4 v[177:180], v[191:192], off offset:64
	;; [unrolled: 1-line block ×3, first 2 shown]
	s_mov_b32 s17, 0xbfe2cf23
	s_mov_b32 s7, 0x3fe2cf23
	;; [unrolled: 1-line block ×4, first 2 shown]
	v_fma_f64 v[185:186], v[152:153], v[156:157], -v[185:186]
	global_load_dwordx4 v[150:153], v[191:192], off offset:32
	v_fma_f64 v[187:188], v[144:145], v[148:149], -v[187:188]
	v_fma_f64 v[189:190], v[146:147], v[148:149], v[189:190]
	s_clause 0x1
	global_load_dwordx4 v[142:145], v[191:192], off offset:128
	global_load_dwordx4 v[146:149], v[191:192], off
	v_fma_f64 v[154:155], v[154:155], v[156:157], v[158:159]
	v_mul_f64 v[156:157], v[130:131], v[134:135]
	v_mul_f64 v[158:159], v[128:129], v[134:135]
	v_fma_f64 v[193:194], v[136:137], v[140:141], -v[193:194]
	v_fma_f64 v[195:196], v[138:139], v[140:141], v[195:196]
	s_clause 0x1
	global_load_dwordx4 v[134:137], v[191:192], off offset:112
	global_load_dwordx4 v[138:141], v[191:192], off offset:48
	s_mov_b32 s5, 0x3fd3c6ef
	s_mov_b32 s19, 0xbfd3c6ef
	;; [unrolled: 1-line block ×5, first 2 shown]
	v_fma_f64 v[156:157], v[128:129], v[132:133], -v[156:157]
	v_fma_f64 v[132:133], v[130:131], v[132:133], v[158:159]
	global_load_dwordx4 v[128:131], v[191:192], off offset:80
	v_mul_f64 v[158:159], v[122:123], v[126:127]
	v_mul_f64 v[126:127], v[120:121], v[126:127]
	v_mul_f64 v[191:192], v[114:115], v[118:119]
	v_mul_f64 v[118:119], v[112:113], v[118:119]
	v_fma_f64 v[120:121], v[120:121], v[124:125], -v[158:159]
	v_fma_f64 v[122:123], v[122:123], v[124:125], v[126:127]
	v_mul_f64 v[124:125], v[106:107], v[110:111]
	v_mul_f64 v[110:111], v[104:105], v[110:111]
	v_mul_f64 v[126:127], v[86:87], v[90:91]
	v_mul_f64 v[90:91], v[84:85], v[90:91]
	v_fma_f64 v[112:113], v[112:113], v[116:117], -v[191:192]
	v_fma_f64 v[114:115], v[114:115], v[116:117], v[118:119]
	;; [unrolled: 6-line block ×3, first 2 shown]
	v_fma_f64 v[84:85], v[84:85], v[88:89], -v[126:127]
	v_fma_f64 v[86:87], v[86:87], v[88:89], v[90:91]
	v_mul_f64 v[124:125], v[195:196], v[94:95]
	v_fma_f64 v[68:69], v[68:69], v[72:73], -v[116:117]
	v_fma_f64 v[70:71], v[70:71], v[72:73], v[74:75]
	v_fma_f64 v[60:61], v[60:61], v[64:65], -v[118:119]
	v_fma_f64 v[62:63], v[62:63], v[64:65], v[66:67]
	v_mul_f64 v[64:65], v[154:155], v[102:103]
	v_mul_f64 v[74:75], v[185:186], v[102:103]
	;; [unrolled: 1-line block ×4, first 2 shown]
	v_fma_f64 v[64:65], v[100:101], v[185:186], -v[64:65]
	v_fma_f64 v[74:75], v[100:101], v[154:155], v[74:75]
	s_waitcnt vmcnt(8)
	v_mul_f64 v[108:109], v[16:17], v[175:176]
	s_waitcnt vmcnt(7)
	v_mul_f64 v[88:89], v[20:21], v[179:180]
	;; [unrolled: 2-line block ×3, first 2 shown]
	v_mul_f64 v[116:117], v[22:23], v[179:180]
	v_mul_f64 v[110:111], v[18:19], v[175:176]
	s_waitcnt vmcnt(5)
	v_mul_f64 v[72:73], v[12:13], v[152:153]
	v_mul_f64 v[66:67], v[14:15], v[152:153]
	s_waitcnt vmcnt(4)
	v_mul_f64 v[118:119], v[44:45], v[144:145]
	v_mul_f64 v[126:127], v[46:47], v[144:145]
	;; [unrolled: 1-line block ×3, first 2 shown]
	v_fma_f64 v[18:19], v[18:19], v[173:174], -v[108:109]
	s_waitcnt vmcnt(3)
	v_mul_f64 v[108:109], v[4:5], v[148:149]
	v_fma_f64 v[22:23], v[22:23], v[177:178], -v[88:89]
	v_fma_f64 v[42:43], v[42:43], v[181:182], -v[90:91]
	v_fma_f64 v[20:21], v[20:21], v[177:178], v[116:117]
	s_waitcnt vmcnt(1)
	v_mul_f64 v[116:117], v[8:9], v[140:141]
	v_fma_f64 v[16:17], v[16:17], v[173:174], v[110:111]
	v_mul_f64 v[88:89], v[193:194], v[94:95]
	v_fma_f64 v[14:15], v[14:15], v[150:151], -v[72:73]
	v_mul_f64 v[94:95], v[36:37], v[136:137]
	v_fma_f64 v[46:47], v[46:47], v[142:143], -v[118:119]
	v_mul_f64 v[110:111], v[38:39], v[136:137]
	v_fma_f64 v[12:13], v[12:13], v[150:151], v[66:67]
	v_mul_f64 v[66:67], v[122:123], v[78:79]
	v_mul_f64 v[72:73], v[120:121], v[78:79]
	s_waitcnt vmcnt(0)
	v_mul_f64 v[136:137], v[32:33], v[130:131]
	v_mul_f64 v[78:79], v[10:11], v[140:141]
	;; [unrolled: 1-line block ×3, first 2 shown]
	v_fma_f64 v[44:45], v[44:45], v[142:143], v[126:127]
	v_mul_f64 v[130:131], v[6:7], v[148:149]
	v_fma_f64 v[40:41], v[40:41], v[181:182], v[144:145]
	v_mul_f64 v[126:127], v[114:115], v[58:59]
	v_mul_f64 v[90:91], v[132:133], v[82:83]
	v_fma_f64 v[6:7], v[6:7], v[146:147], -v[108:109]
	v_mul_f64 v[82:83], v[156:157], v[82:83]
	v_add_f64 v[108:109], v[22:23], v[42:43]
	v_mul_f64 v[58:59], v[112:113], v[58:59]
	v_fma_f64 v[10:11], v[10:11], v[138:139], -v[116:117]
	v_mul_f64 v[140:141], v[106:107], v[54:55]
	v_fma_f64 v[88:89], v[92:93], v[195:196], v[88:89]
	v_add_f64 v[144:145], v[22:23], -v[14:15]
	v_fma_f64 v[38:39], v[38:39], v[134:135], -v[94:95]
	v_add_f64 v[116:117], v[14:15], v[46:47]
	v_fma_f64 v[36:37], v[36:37], v[134:135], v[110:111]
	v_add_f64 v[179:180], v[20:21], -v[12:13]
	v_fma_f64 v[66:67], v[76:77], v[120:121], -v[66:67]
	v_fma_f64 v[72:73], v[76:77], v[122:123], v[72:73]
	v_fma_f64 v[34:35], v[34:35], v[128:129], -v[136:137]
	v_fma_f64 v[8:9], v[8:9], v[138:139], v[78:79]
	v_fma_f64 v[78:79], v[96:97], v[187:188], -v[102:103]
	v_add_f64 v[102:103], v[12:13], -v[44:45]
	v_fma_f64 v[4:5], v[4:5], v[146:147], v[130:131]
	v_add_f64 v[100:101], v[20:21], v[40:41]
	v_fma_f64 v[32:33], v[32:33], v[128:129], v[118:119]
	v_fma_f64 v[76:77], v[56:57], v[112:113], -v[126:127]
	v_add_f64 v[112:113], v[12:13], v[44:45]
	v_add_f64 v[118:119], v[20:21], -v[40:41]
	v_fma_f64 v[108:109], v[108:109], -0.5, v[6:7]
	v_add_f64 v[126:127], v[14:15], -v[46:47]
	v_add_f64 v[128:129], v[14:15], -v[22:23]
	;; [unrolled: 1-line block ×3, first 2 shown]
	v_fma_f64 v[96:97], v[96:97], v[189:190], v[98:99]
	v_fma_f64 v[98:99], v[92:93], v[193:194], -v[124:125]
	v_fma_f64 v[90:91], v[80:81], v[156:157], -v[90:91]
	v_fma_f64 v[116:117], v[116:117], -0.5, v[6:7]
	v_fma_f64 v[80:81], v[80:81], v[132:133], v[82:83]
	v_add_f64 v[82:83], v[18:19], -v[10:11]
	v_add_f64 v[138:139], v[22:23], -v[42:43]
	;; [unrolled: 1-line block ×4, first 2 shown]
	v_add_f64 v[152:153], v[18:19], v[38:39]
	v_add_f64 v[154:155], v[16:17], v[36:37]
	;; [unrolled: 1-line block ×3, first 2 shown]
	v_add_f64 v[132:133], v[12:13], -v[20:21]
	v_fma_f64 v[100:101], v[100:101], -0.5, v[4:5]
	v_add_f64 v[150:151], v[8:9], v[32:33]
	v_add_f64 v[136:137], v[44:45], -v[40:41]
	v_fma_f64 v[112:113], v[112:113], -0.5, v[4:5]
	v_add_f64 v[173:174], v[18:19], -v[38:39]
	v_fma_f64 v[134:135], v[102:103], s[14:15], v[108:109]
	v_fma_f64 v[108:109], v[102:103], s[12:13], v[108:109]
	v_add_f64 v[177:178], v[10:11], -v[18:19]
	v_add_f64 v[128:129], v[128:129], v[130:131]
	v_add_f64 v[6:7], v[6:7], v[14:15]
	;; [unrolled: 1-line block ×4, first 2 shown]
	v_fma_f64 v[175:176], v[118:119], s[12:13], v[116:117]
	v_fma_f64 v[116:117], v[118:119], s[14:15], v[116:117]
	v_add_f64 v[12:13], v[0:1], v[16:17]
	v_add_f64 v[124:125], v[8:9], -v[32:33]
	v_add_f64 v[158:159], v[10:11], -v[34:35]
	;; [unrolled: 1-line block ×3, first 2 shown]
	v_fma_f64 v[152:153], v[152:153], -0.5, v[2:3]
	v_add_f64 v[144:145], v[144:145], v[146:147]
	v_add_f64 v[82:83], v[82:83], v[92:93]
	v_add_f64 v[122:123], v[16:17], -v[36:37]
	v_fma_f64 v[130:131], v[126:127], s[12:13], v[100:101]
	v_fma_f64 v[150:151], v[150:151], -0.5, v[0:1]
	v_fma_f64 v[0:1], v[154:155], -0.5, v[0:1]
	v_fma_f64 v[146:147], v[138:139], s[14:15], v[112:113]
	v_fma_f64 v[112:113], v[138:139], s[12:13], v[112:113]
	v_fma_f64 v[134:135], v[118:119], s[16:17], v[134:135]
	v_fma_f64 v[2:3], v[120:121], -0.5, v[2:3]
	v_fma_f64 v[100:101], v[126:127], s[14:15], v[100:101]
	v_fma_f64 v[108:109], v[118:119], s[6:7], v[108:109]
	v_add_f64 v[148:149], v[16:17], -v[8:9]
	v_add_f64 v[16:17], v[8:9], -v[16:17]
	v_add_f64 v[10:11], v[18:19], v[10:11]
	v_fma_f64 v[175:176], v[102:103], s[16:17], v[175:176]
	v_fma_f64 v[92:93], v[102:103], s[6:7], v[116:117]
	v_add_f64 v[102:103], v[132:133], v[136:137]
	v_add_f64 v[6:7], v[6:7], v[22:23]
	;; [unrolled: 1-line block ×4, first 2 shown]
	v_add_f64 v[181:182], v[34:35], -v[38:39]
	v_add_f64 v[154:155], v[32:33], -v[36:37]
	v_add_f64 v[14:15], v[179:180], v[14:15]
	v_fma_f64 v[18:19], v[124:125], s[12:13], v[152:153]
	v_fma_f64 v[120:121], v[138:139], s[6:7], v[130:131]
	;; [unrolled: 1-line block ×8, first 2 shown]
	v_add_f64 v[156:157], v[36:37], -v[32:33]
	v_fma_f64 v[12:13], v[173:174], s[12:13], v[150:151]
	v_fma_f64 v[134:135], v[122:123], s[14:15], v[2:3]
	;; [unrolled: 1-line block ×8, first 2 shown]
	v_add_f64 v[10:11], v[10:11], v[34:35]
	v_add_f64 v[6:7], v[6:7], v[42:43]
	v_add_f64 v[8:9], v[8:9], v[32:33]
	v_add_f64 v[4:5], v[4:5], v[40:41]
	v_add_f64 v[132:133], v[177:178], v[181:182]
	v_add_f64 v[16:17], v[16:17], v[154:155]
	v_fma_f64 v[120:121], v[102:103], s[4:5], v[120:121]
	v_fma_f64 v[18:19], v[122:123], s[16:17], v[18:19]
	;; [unrolled: 1-line block ×5, first 2 shown]
	v_mul_f64 v[128:129], v[118:119], s[16:17]
	v_fma_f64 v[32:33], v[14:15], s[4:5], v[130:131]
	v_fma_f64 v[14:15], v[14:15], s[4:5], v[112:113]
	v_add_f64 v[116:117], v[148:149], v[156:157]
	v_fma_f64 v[12:13], v[158:159], s[6:7], v[12:13]
	v_fma_f64 v[112:113], v[124:125], s[16:17], v[134:135]
	;; [unrolled: 1-line block ×3, first 2 shown]
	v_mul_f64 v[34:35], v[126:127], s[14:15]
	v_mul_f64 v[40:41], v[126:127], s[18:19]
	;; [unrolled: 1-line block ×6, first 2 shown]
	v_fma_f64 v[122:123], v[158:159], s[16:17], v[136:137]
	v_mul_f64 v[118:119], v[108:109], s[16:17]
	v_fma_f64 v[2:3], v[124:125], s[6:7], v[2:3]
	v_mul_f64 v[142:143], v[86:87], v[50:51]
	v_mul_f64 v[50:51], v[84:85], v[50:51]
	;; [unrolled: 1-line block ×4, first 2 shown]
	v_add_f64 v[10:11], v[10:11], v[38:39]
	v_add_f64 v[6:7], v[6:7], v[46:47]
	v_fma_f64 v[126:127], v[120:121], s[10:11], v[128:129]
	s_mov_b32 s11, 0x3fe9e377
	v_add_f64 v[8:9], v[8:9], v[36:37]
	v_mul_f64 v[108:109], v[108:109], s[10:11]
	v_add_f64 v[4:5], v[4:5], v[44:45]
	v_mul_f64 v[94:95], v[70:71], v[30:31]
	v_mul_f64 v[30:31], v[68:69], v[30:31]
	v_fma_f64 v[18:19], v[132:133], s[4:5], v[18:19]
	v_fma_f64 v[20:21], v[16:17], s[4:5], v[20:21]
	;; [unrolled: 1-line block ×11, first 2 shown]
	v_fma_f64 v[38:39], v[52:53], v[104:105], -v[140:141]
	v_fma_f64 v[40:41], v[52:53], v[106:107], v[54:55]
	v_fma_f64 v[44:45], v[116:117], s[4:5], v[122:123]
	;; [unrolled: 1-line block ×5, first 2 shown]
	v_fma_f64 v[56:57], v[48:49], v[84:85], -v[142:143]
	v_fma_f64 v[54:55], v[100:101], s[6:7], v[108:109]
	v_fma_f64 v[48:49], v[48:49], v[86:87], v[50:51]
	;; [unrolled: 1-line block ×3, first 2 shown]
	v_add_f64 v[50:51], v[8:9], -v[4:5]
	v_add_f64 v[58:59], v[10:11], -v[6:7]
	v_add_f64 v[4:5], v[8:9], v[4:5]
	v_add_f64 v[6:7], v[10:11], v[6:7]
	v_fma_f64 v[30:31], v[28:29], v[70:71], v[30:31]
	v_add_f64 v[62:63], v[20:21], -v[16:17]
	v_add_f64 v[70:71], v[18:19], -v[32:33]
	v_add_f64 v[82:83], v[0:1], -v[34:35]
	v_add_f64 v[84:85], v[22:23], -v[14:15]
	v_add_f64 v[34:35], v[0:1], v[34:35]
	v_add_f64 v[92:93], v[22:23], v[14:15]
	v_add_f64 v[8:9], v[12:13], -v[126:127]
	v_add_f64 v[20:21], v[20:21], v[16:17]
	v_add_f64 v[32:33], v[18:19], v[32:33]
	;; [unrolled: 1-line block ×4, first 2 shown]
	v_add_f64 v[100:101], v[44:45], -v[52:53]
	v_add_f64 v[44:45], v[44:45], v[52:53]
	v_add_f64 v[10:11], v[42:43], -v[46:47]
	v_add_f64 v[52:53], v[2:3], v[54:55]
	v_add_f64 v[54:55], v[2:3], -v[54:55]
	v_fma_f64 v[12:13], v[24:25], v[60:61], -v[110:111]
	v_mul_f64 v[0:1], v[50:51], v[72:73]
	v_mul_f64 v[14:15], v[58:59], v[72:73]
	;; [unrolled: 1-line block ×4, first 2 shown]
	v_fma_f64 v[42:43], v[28:29], v[68:69], -v[94:95]
	v_mul_f64 v[26:27], v[62:63], v[96:97]
	v_mul_f64 v[28:29], v[70:71], v[96:97]
	;; [unrolled: 1-line block ×16, first 2 shown]
	v_fma_f64 v[2:3], v[58:59], v[66:67], -v[0:1]
	v_fma_f64 v[0:1], v[50:51], v[66:67], v[14:15]
	v_fma_f64 v[6:7], v[6:7], v[12:13], -v[16:17]
	v_fma_f64 v[4:5], v[4:5], v[12:13], v[18:19]
	;; [unrolled: 2-line block ×5, first 2 shown]
	v_fma_f64 v[10:11], v[10:11], v[64:65], -v[24:25]
	v_fma_f64 v[26:27], v[32:33], v[38:39], -v[72:73]
	v_fma_f64 v[24:25], v[20:21], v[38:39], v[40:41]
	v_fma_f64 v[22:23], v[22:23], v[76:77], -v[68:69]
	v_fma_f64 v[20:21], v[86:87], v[76:77], v[36:37]
	v_fma_f64 v[34:35], v[54:55], v[90:91], -v[94:95]
	v_fma_f64 v[38:39], v[52:53], v[42:43], -v[96:97]
	v_fma_f64 v[8:9], v[8:9], v[64:65], v[74:75]
	v_fma_f64 v[36:37], v[44:45], v[42:43], v[102:103]
	;; [unrolled: 1-line block ×3, first 2 shown]
	ds_write_b128 v172, v[4:7]
	ds_write_b128 v171, v[0:3] offset:480
	ds_write_b128 v171, v[28:31] offset:192
	ds_write_b128 v171, v[24:27] offset:288
	ds_write_b128 v171, v[20:23] offset:384
	ds_write_b128 v171, v[16:19] offset:672
	ds_write_b128 v171, v[12:15] offset:768
	ds_write_b128 v171, v[36:39] offset:96
	ds_write_b128 v171, v[32:35] offset:576
	ds_write_b128 v171, v[8:11] offset:864
.LBB0_19:
	s_or_b32 exec_lo, exec_lo, s21
	s_waitcnt lgkmcnt(0)
	s_barrier
	buffer_gl0_inv
	s_and_saveexec_b32 s4, s20
	s_cbranch_execz .LBB0_21
; %bb.20:
	v_mad_u64_u32 v[4:5], null, s2, v168, 0
	v_mad_u64_u32 v[6:7], null, s0, v166, 0
	v_add3_u32 v18, 0, v169, v170
	v_mad_u64_u32 v[8:9], null, s0, v167, 0
	v_mad_u64_u32 v[10:11], null, s0, v165, 0
	v_mov_b32_e32 v0, v5
	v_add_co_u32 v14, vcc_lo, s8, v160
	v_add_co_ci_u32_e32 v15, vcc_lo, s9, v161, vcc_lo
	v_mad_u64_u32 v[0:1], null, s3, v168, v[0:1]
	v_mov_b32_e32 v1, v7
	v_mad_u64_u32 v[16:17], null, s0, v162, 0
	v_mad_u64_u32 v[20:21], null, s0, v164, 0
	;; [unrolled: 1-line block ×3, first 2 shown]
	v_mov_b32_e32 v5, v0
	ds_read_b128 v[0:3], v18
	v_mad_u64_u32 v[22:23], null, s0, v163, 0
	v_lshlrev_b64 v[4:5], 4, v[4:5]
	v_mov_b32_e32 v7, v12
	v_mad_u64_u32 v[12:13], null, s1, v167, v[9:10]
	v_lshlrev_b64 v[6:7], 4, v[6:7]
	v_add_co_u32 v31, vcc_lo, v14, v4
	v_add_co_ci_u32_e32 v32, vcc_lo, v15, v5, vcc_lo
	v_mad_u64_u32 v[13:14], null, s1, v165, v[11:12]
	v_add_co_u32 v14, vcc_lo, v31, v6
	v_add_co_ci_u32_e32 v15, vcc_lo, v32, v7, vcc_lo
	ds_read_b128 v[4:7], v18 offset:160
	v_mov_b32_e32 v9, v12
	v_mov_b32_e32 v11, v13
	s_waitcnt lgkmcnt(1)
	global_store_dwordx4 v[14:15], v[0:3], off
	v_mov_b32_e32 v2, v17
	v_lshlrev_b64 v[0:1], 4, v[8:9]
	v_lshlrev_b64 v[8:9], 4, v[10:11]
	v_add_co_u32 v24, vcc_lo, v31, v0
	v_add_co_ci_u32_e32 v25, vcc_lo, v32, v1, vcc_lo
	v_mad_u64_u32 v[1:2], null, s1, v162, v[2:3]
	v_mov_b32_e32 v0, v21
	v_add_co_u32 v26, vcc_lo, v31, v8
	v_add_co_ci_u32_e32 v27, vcc_lo, v32, v9, vcc_lo
	v_mad_u64_u32 v[2:3], null, s1, v164, v[0:1]
	v_mov_b32_e32 v0, v23
	v_mov_b32_e32 v17, v1
	v_mad_u64_u32 v[28:29], null, s1, v163, v[0:1]
	v_mov_b32_e32 v21, v2
	ds_read_b128 v[0:3], v18 offset:320
	ds_read_b128 v[8:11], v18 offset:480
	v_lshlrev_b64 v[29:30], 4, v[16:17]
	ds_read_b128 v[12:15], v18 offset:640
	ds_read_b128 v[16:19], v18 offset:800
	v_lshlrev_b64 v[20:21], 4, v[20:21]
	v_mov_b32_e32 v23, v28
	v_add_co_u32 v28, vcc_lo, v31, v29
	v_add_co_ci_u32_e32 v29, vcc_lo, v32, v30, vcc_lo
	v_lshlrev_b64 v[22:23], 4, v[22:23]
	v_add_co_u32 v20, vcc_lo, v31, v20
	v_add_co_ci_u32_e32 v21, vcc_lo, v32, v21, vcc_lo
	v_add_co_u32 v22, vcc_lo, v31, v22
	v_add_co_ci_u32_e32 v23, vcc_lo, v32, v23, vcc_lo
	s_waitcnt lgkmcnt(4)
	global_store_dwordx4 v[24:25], v[4:7], off
	s_waitcnt lgkmcnt(3)
	global_store_dwordx4 v[26:27], v[0:3], off
	s_waitcnt lgkmcnt(2)
	global_store_dwordx4 v[28:29], v[8:11], off
	s_waitcnt lgkmcnt(1)
	global_store_dwordx4 v[20:21], v[12:15], off
	s_waitcnt lgkmcnt(0)
	global_store_dwordx4 v[22:23], v[16:19], off
.LBB0_21:
	s_endpgm
	.section	.rodata,"a",@progbits
	.p2align	6, 0x0
	.amdhsa_kernel fft_rtc_back_len60_factors_6_10_wgs_160_tpt_10_dp_ip_CI_sbcc_twdbase5_3step
		.amdhsa_group_segment_fixed_size 0
		.amdhsa_private_segment_fixed_size 0
		.amdhsa_kernarg_size 96
		.amdhsa_user_sgpr_count 6
		.amdhsa_user_sgpr_private_segment_buffer 1
		.amdhsa_user_sgpr_dispatch_ptr 0
		.amdhsa_user_sgpr_queue_ptr 0
		.amdhsa_user_sgpr_kernarg_segment_ptr 1
		.amdhsa_user_sgpr_dispatch_id 0
		.amdhsa_user_sgpr_flat_scratch_init 0
		.amdhsa_user_sgpr_private_segment_size 0
		.amdhsa_wavefront_size32 1
		.amdhsa_uses_dynamic_stack 0
		.amdhsa_system_sgpr_private_segment_wavefront_offset 0
		.amdhsa_system_sgpr_workgroup_id_x 1
		.amdhsa_system_sgpr_workgroup_id_y 0
		.amdhsa_system_sgpr_workgroup_id_z 0
		.amdhsa_system_sgpr_workgroup_info 0
		.amdhsa_system_vgpr_workitem_id 0
		.amdhsa_next_free_vgpr 197
		.amdhsa_next_free_sgpr 42
		.amdhsa_reserve_vcc 1
		.amdhsa_reserve_flat_scratch 0
		.amdhsa_float_round_mode_32 0
		.amdhsa_float_round_mode_16_64 0
		.amdhsa_float_denorm_mode_32 3
		.amdhsa_float_denorm_mode_16_64 3
		.amdhsa_dx10_clamp 1
		.amdhsa_ieee_mode 1
		.amdhsa_fp16_overflow 0
		.amdhsa_workgroup_processor_mode 1
		.amdhsa_memory_ordered 1
		.amdhsa_forward_progress 0
		.amdhsa_shared_vgpr_count 0
		.amdhsa_exception_fp_ieee_invalid_op 0
		.amdhsa_exception_fp_denorm_src 0
		.amdhsa_exception_fp_ieee_div_zero 0
		.amdhsa_exception_fp_ieee_overflow 0
		.amdhsa_exception_fp_ieee_underflow 0
		.amdhsa_exception_fp_ieee_inexact 0
		.amdhsa_exception_int_div_zero 0
	.end_amdhsa_kernel
	.text
.Lfunc_end0:
	.size	fft_rtc_back_len60_factors_6_10_wgs_160_tpt_10_dp_ip_CI_sbcc_twdbase5_3step, .Lfunc_end0-fft_rtc_back_len60_factors_6_10_wgs_160_tpt_10_dp_ip_CI_sbcc_twdbase5_3step
                                        ; -- End function
	.section	.AMDGPU.csdata,"",@progbits
; Kernel info:
; codeLenInByte = 6584
; NumSgprs: 44
; NumVgprs: 197
; ScratchSize: 0
; MemoryBound: 0
; FloatMode: 240
; IeeeMode: 1
; LDSByteSize: 0 bytes/workgroup (compile time only)
; SGPRBlocks: 5
; VGPRBlocks: 24
; NumSGPRsForWavesPerEU: 44
; NumVGPRsForWavesPerEU: 197
; Occupancy: 4
; WaveLimiterHint : 1
; COMPUTE_PGM_RSRC2:SCRATCH_EN: 0
; COMPUTE_PGM_RSRC2:USER_SGPR: 6
; COMPUTE_PGM_RSRC2:TRAP_HANDLER: 0
; COMPUTE_PGM_RSRC2:TGID_X_EN: 1
; COMPUTE_PGM_RSRC2:TGID_Y_EN: 0
; COMPUTE_PGM_RSRC2:TGID_Z_EN: 0
; COMPUTE_PGM_RSRC2:TIDIG_COMP_CNT: 0
	.text
	.p2alignl 6, 3214868480
	.fill 48, 4, 3214868480
	.type	__hip_cuid_36546181593dcb4c,@object ; @__hip_cuid_36546181593dcb4c
	.section	.bss,"aw",@nobits
	.globl	__hip_cuid_36546181593dcb4c
__hip_cuid_36546181593dcb4c:
	.byte	0                               ; 0x0
	.size	__hip_cuid_36546181593dcb4c, 1

	.ident	"AMD clang version 19.0.0git (https://github.com/RadeonOpenCompute/llvm-project roc-6.4.0 25133 c7fe45cf4b819c5991fe208aaa96edf142730f1d)"
	.section	".note.GNU-stack","",@progbits
	.addrsig
	.addrsig_sym __hip_cuid_36546181593dcb4c
	.amdgpu_metadata
---
amdhsa.kernels:
  - .args:
      - .actual_access:  read_only
        .address_space:  global
        .offset:         0
        .size:           8
        .value_kind:     global_buffer
      - .address_space:  global
        .offset:         8
        .size:           8
        .value_kind:     global_buffer
      - .offset:         16
        .size:           8
        .value_kind:     by_value
      - .actual_access:  read_only
        .address_space:  global
        .offset:         24
        .size:           8
        .value_kind:     global_buffer
      - .actual_access:  read_only
        .address_space:  global
        .offset:         32
        .size:           8
        .value_kind:     global_buffer
      - .offset:         40
        .size:           8
        .value_kind:     by_value
      - .actual_access:  read_only
        .address_space:  global
        .offset:         48
        .size:           8
        .value_kind:     global_buffer
      - .actual_access:  read_only
        .address_space:  global
        .offset:         56
        .size:           8
        .value_kind:     global_buffer
      - .offset:         64
        .size:           4
        .value_kind:     by_value
      - .actual_access:  read_only
        .address_space:  global
        .offset:         72
        .size:           8
        .value_kind:     global_buffer
      - .actual_access:  read_only
        .address_space:  global
        .offset:         80
        .size:           8
        .value_kind:     global_buffer
      - .address_space:  global
        .offset:         88
        .size:           8
        .value_kind:     global_buffer
    .group_segment_fixed_size: 0
    .kernarg_segment_align: 8
    .kernarg_segment_size: 96
    .language:       OpenCL C
    .language_version:
      - 2
      - 0
    .max_flat_workgroup_size: 160
    .name:           fft_rtc_back_len60_factors_6_10_wgs_160_tpt_10_dp_ip_CI_sbcc_twdbase5_3step
    .private_segment_fixed_size: 0
    .sgpr_count:     44
    .sgpr_spill_count: 0
    .symbol:         fft_rtc_back_len60_factors_6_10_wgs_160_tpt_10_dp_ip_CI_sbcc_twdbase5_3step.kd
    .uniform_work_group_size: 1
    .uses_dynamic_stack: false
    .vgpr_count:     197
    .vgpr_spill_count: 0
    .wavefront_size: 32
    .workgroup_processor_mode: 1
amdhsa.target:   amdgcn-amd-amdhsa--gfx1030
amdhsa.version:
  - 1
  - 2
...

	.end_amdgpu_metadata
